;; amdgpu-corpus repo=ROCm/rocFFT kind=compiled arch=gfx950 opt=O3
	.text
	.amdgcn_target "amdgcn-amd-amdhsa--gfx950"
	.amdhsa_code_object_version 6
	.protected	fft_rtc_fwd_len84_factors_7_2_6_wgs_120_tpt_12_halfLds_half_op_CI_CI_unitstride_sbrr_R2C_dirReg ; -- Begin function fft_rtc_fwd_len84_factors_7_2_6_wgs_120_tpt_12_halfLds_half_op_CI_CI_unitstride_sbrr_R2C_dirReg
	.globl	fft_rtc_fwd_len84_factors_7_2_6_wgs_120_tpt_12_halfLds_half_op_CI_CI_unitstride_sbrr_R2C_dirReg
	.p2align	8
	.type	fft_rtc_fwd_len84_factors_7_2_6_wgs_120_tpt_12_halfLds_half_op_CI_CI_unitstride_sbrr_R2C_dirReg,@function
fft_rtc_fwd_len84_factors_7_2_6_wgs_120_tpt_12_halfLds_half_op_CI_CI_unitstride_sbrr_R2C_dirReg: ; @fft_rtc_fwd_len84_factors_7_2_6_wgs_120_tpt_12_halfLds_half_op_CI_CI_unitstride_sbrr_R2C_dirReg
; %bb.0:
	s_load_dwordx4 s[4:7], s[0:1], 0x58
	s_load_dwordx4 s[8:11], s[0:1], 0x0
	;; [unrolled: 1-line block ×3, first 2 shown]
	v_mul_u32_u24_e32 v1, 0x1556, v0
	v_lshrrev_b32_e32 v2, 16, v1
	v_mad_u64_u32 v[6:7], s[2:3], s2, 10, v[2:3]
	v_mov_b32_e32 v8, 0
	v_mov_b32_e32 v7, v8
	s_waitcnt lgkmcnt(0)
	v_cmp_lt_u64_e64 s[2:3], s[10:11], 2
	v_mov_b64_e32 v[14:15], 0
	s_and_b64 vcc, exec, s[2:3]
	v_mov_b64_e32 v[2:3], v[14:15]
	v_mov_b64_e32 v[4:5], v[6:7]
	s_cbranch_vccnz .LBB0_8
; %bb.1:
	s_load_dwordx2 s[2:3], s[0:1], 0x10
	s_add_u32 s16, s14, 8
	s_addc_u32 s17, s15, 0
	s_add_u32 s18, s12, 8
	s_addc_u32 s19, s13, 0
	s_waitcnt lgkmcnt(0)
	s_add_u32 s20, s2, 8
	v_mov_b64_e32 v[14:15], 0
	s_addc_u32 s21, s3, 0
	s_mov_b64 s[22:23], 1
	v_mov_b64_e32 v[2:3], v[14:15]
	v_mov_b64_e32 v[10:11], v[6:7]
.LBB0_2:                                ; =>This Inner Loop Header: Depth=1
	s_load_dwordx2 s[24:25], s[20:21], 0x0
                                        ; implicit-def: $vgpr4_vgpr5
	s_waitcnt lgkmcnt(0)
	v_or_b32_e32 v9, s25, v11
	v_cmp_ne_u64_e32 vcc, 0, v[8:9]
	s_and_saveexec_b64 s[2:3], vcc
	s_xor_b64 s[26:27], exec, s[2:3]
	s_cbranch_execz .LBB0_4
; %bb.3:                                ;   in Loop: Header=BB0_2 Depth=1
	v_cvt_f32_u32_e32 v1, s24
	v_cvt_f32_u32_e32 v4, s25
	s_sub_u32 s2, 0, s24
	s_subb_u32 s3, 0, s25
	v_fmac_f32_e32 v1, 0x4f800000, v4
	v_rcp_f32_e32 v1, v1
	s_nop 0
	v_mul_f32_e32 v1, 0x5f7ffffc, v1
	v_mul_f32_e32 v4, 0x2f800000, v1
	v_trunc_f32_e32 v4, v4
	v_fmac_f32_e32 v1, 0xcf800000, v4
	v_cvt_u32_f32_e32 v7, v4
	v_cvt_u32_f32_e32 v1, v1
	v_mul_lo_u32 v4, s2, v7
	v_mul_hi_u32 v9, s2, v1
	v_mul_lo_u32 v5, s3, v1
	v_add_u32_e32 v9, v9, v4
	v_mul_lo_u32 v16, s2, v1
	v_add_u32_e32 v9, v9, v5
	v_mul_hi_u32 v4, v1, v16
	v_mul_hi_u32 v13, v1, v9
	v_mul_lo_u32 v12, v1, v9
	v_mov_b32_e32 v5, v8
	v_lshl_add_u64 v[4:5], v[4:5], 0, v[12:13]
	v_mul_hi_u32 v13, v7, v16
	v_mul_lo_u32 v16, v7, v16
	v_add_co_u32_e32 v4, vcc, v4, v16
	v_mul_hi_u32 v12, v7, v9
	s_nop 0
	v_addc_co_u32_e32 v4, vcc, v5, v13, vcc
	v_mov_b32_e32 v5, v8
	s_nop 0
	v_addc_co_u32_e32 v13, vcc, 0, v12, vcc
	v_mul_lo_u32 v12, v7, v9
	v_lshl_add_u64 v[4:5], v[4:5], 0, v[12:13]
	v_add_co_u32_e32 v1, vcc, v1, v4
	v_mul_lo_u32 v12, s2, v1
	s_nop 0
	v_addc_co_u32_e32 v7, vcc, v7, v5, vcc
	v_mul_lo_u32 v4, s2, v7
	v_mul_hi_u32 v5, s2, v1
	v_add_u32_e32 v4, v5, v4
	v_mul_lo_u32 v5, s3, v1
	v_add_u32_e32 v9, v4, v5
	v_mul_hi_u32 v17, v7, v12
	v_mul_lo_u32 v18, v7, v12
	v_mul_hi_u32 v5, v1, v9
	v_mul_lo_u32 v4, v1, v9
	v_mul_hi_u32 v12, v1, v12
	v_mov_b32_e32 v13, v8
	v_lshl_add_u64 v[4:5], v[12:13], 0, v[4:5]
	v_add_co_u32_e32 v4, vcc, v4, v18
	v_mul_hi_u32 v16, v7, v9
	s_nop 0
	v_addc_co_u32_e32 v4, vcc, v5, v17, vcc
	v_mul_lo_u32 v12, v7, v9
	s_nop 0
	v_addc_co_u32_e32 v13, vcc, 0, v16, vcc
	v_mov_b32_e32 v5, v8
	v_lshl_add_u64 v[4:5], v[4:5], 0, v[12:13]
	v_add_co_u32_e32 v1, vcc, v1, v4
	v_mul_hi_u32 v12, v10, v1
	s_nop 0
	v_addc_co_u32_e32 v7, vcc, v7, v5, vcc
	v_mad_u64_u32 v[4:5], s[2:3], v10, v7, 0
	v_mov_b32_e32 v13, v8
	v_lshl_add_u64 v[4:5], v[12:13], 0, v[4:5]
	v_mad_u64_u32 v[16:17], s[2:3], v11, v1, 0
	v_add_co_u32_e32 v1, vcc, v4, v16
	v_mad_u64_u32 v[12:13], s[2:3], v11, v7, 0
	s_nop 0
	v_addc_co_u32_e32 v4, vcc, v5, v17, vcc
	v_mov_b32_e32 v5, v8
	s_nop 0
	v_addc_co_u32_e32 v13, vcc, 0, v13, vcc
	v_lshl_add_u64 v[4:5], v[4:5], 0, v[12:13]
	v_mul_lo_u32 v1, s25, v4
	v_mul_lo_u32 v7, s24, v5
	v_mad_u64_u32 v[12:13], s[2:3], s24, v4, 0
	v_add3_u32 v1, v13, v7, v1
	v_sub_u32_e32 v7, v11, v1
	v_mov_b32_e32 v9, s25
	v_sub_co_u32_e32 v18, vcc, v10, v12
	v_lshl_add_u64 v[16:17], v[4:5], 0, 1
	s_nop 0
	v_subb_co_u32_e64 v7, s[2:3], v7, v9, vcc
	v_subrev_co_u32_e64 v9, s[2:3], s24, v18
	v_subb_co_u32_e32 v1, vcc, v11, v1, vcc
	s_nop 0
	v_subbrev_co_u32_e64 v7, s[2:3], 0, v7, s[2:3]
	v_cmp_le_u32_e64 s[2:3], s25, v7
	v_cmp_le_u32_e32 vcc, s25, v1
	s_nop 0
	v_cndmask_b32_e64 v12, 0, -1, s[2:3]
	v_cmp_le_u32_e64 s[2:3], s24, v9
	s_nop 1
	v_cndmask_b32_e64 v9, 0, -1, s[2:3]
	v_cmp_eq_u32_e64 s[2:3], s25, v7
	s_nop 1
	v_cndmask_b32_e64 v7, v12, v9, s[2:3]
	v_lshl_add_u64 v[12:13], v[4:5], 0, 2
	v_cmp_ne_u32_e64 s[2:3], 0, v7
	v_cndmask_b32_e64 v9, 0, -1, vcc
	v_cmp_le_u32_e32 vcc, s24, v18
	v_cndmask_b32_e64 v7, v17, v13, s[2:3]
	s_nop 0
	v_cndmask_b32_e64 v13, 0, -1, vcc
	v_cmp_eq_u32_e32 vcc, s25, v1
	s_nop 1
	v_cndmask_b32_e32 v1, v9, v13, vcc
	v_cmp_ne_u32_e32 vcc, 0, v1
	v_cndmask_b32_e64 v1, v16, v12, s[2:3]
	s_nop 0
	v_cndmask_b32_e32 v5, v5, v7, vcc
	v_cndmask_b32_e32 v4, v4, v1, vcc
.LBB0_4:                                ;   in Loop: Header=BB0_2 Depth=1
	s_andn2_saveexec_b64 s[2:3], s[26:27]
	s_cbranch_execz .LBB0_6
; %bb.5:                                ;   in Loop: Header=BB0_2 Depth=1
	v_cvt_f32_u32_e32 v1, s24
	s_sub_i32 s26, 0, s24
	v_rcp_iflag_f32_e32 v1, v1
	s_nop 0
	v_mul_f32_e32 v1, 0x4f7ffffe, v1
	v_cvt_u32_f32_e32 v1, v1
	v_mul_lo_u32 v4, s26, v1
	v_mul_hi_u32 v4, v1, v4
	v_add_u32_e32 v1, v1, v4
	v_mul_hi_u32 v1, v10, v1
	v_mul_lo_u32 v4, v1, s24
	v_sub_u32_e32 v4, v10, v4
	v_add_u32_e32 v5, 1, v1
	v_subrev_u32_e32 v7, s24, v4
	v_cmp_le_u32_e32 vcc, s24, v4
	s_nop 1
	v_cndmask_b32_e32 v4, v4, v7, vcc
	v_cndmask_b32_e32 v1, v1, v5, vcc
	v_add_u32_e32 v5, 1, v1
	v_cmp_le_u32_e32 vcc, s24, v4
	s_nop 1
	v_cndmask_b32_e32 v4, v1, v5, vcc
	v_mov_b32_e32 v5, v8
.LBB0_6:                                ;   in Loop: Header=BB0_2 Depth=1
	s_or_b64 exec, exec, s[2:3]
	v_mad_u64_u32 v[12:13], s[2:3], v4, s24, 0
	s_load_dwordx2 s[2:3], s[18:19], 0x0
	s_add_u32 s22, s22, 1
	v_mul_lo_u32 v1, v5, s24
	v_mul_lo_u32 v7, v4, s25
	s_load_dwordx2 s[24:25], s[16:17], 0x0
	s_addc_u32 s23, s23, 0
	v_add3_u32 v1, v13, v7, v1
	v_sub_co_u32_e32 v7, vcc, v10, v12
	s_add_u32 s16, s16, 8
	s_nop 0
	v_subb_co_u32_e32 v1, vcc, v11, v1, vcc
	s_addc_u32 s17, s17, 0
	s_waitcnt lgkmcnt(0)
	v_mul_lo_u32 v9, s2, v1
	v_mul_lo_u32 v10, s3, v7
	v_mad_u64_u32 v[14:15], s[2:3], s2, v7, v[14:15]
	s_add_u32 s18, s18, 8
	v_add3_u32 v15, v10, v15, v9
	s_addc_u32 s19, s19, 0
	v_mov_b64_e32 v[10:11], s[10:11]
	v_mul_lo_u32 v1, s24, v1
	v_mul_lo_u32 v9, s25, v7
	v_mad_u64_u32 v[2:3], s[2:3], s24, v7, v[2:3]
	s_add_u32 s20, s20, 8
	v_cmp_ge_u64_e32 vcc, s[22:23], v[10:11]
	v_add3_u32 v3, v9, v3, v1
	s_addc_u32 s21, s21, 0
	s_cbranch_vccnz .LBB0_8
; %bb.7:                                ;   in Loop: Header=BB0_2 Depth=1
	v_mov_b64_e32 v[10:11], v[4:5]
	s_branch .LBB0_2
.LBB0_8:
	s_load_dwordx2 s[0:1], s[0:1], 0x28
	s_lshl_b64 s[10:11], s[10:11], 3
	s_add_u32 s2, s14, s10
	s_mov_b32 s14, 0xcccccccd
	v_mul_hi_u32 v1, v6, s14
	v_lshrrev_b32_e32 v1, 3, v1
	v_mul_lo_u32 v1, v1, 10
	s_addc_u32 s3, s15, s11
	v_sub_u32_e32 v1, v6, v1
	s_waitcnt lgkmcnt(0)
	v_cmp_gt_u64_e32 vcc, s[0:1], v[4:5]
	v_cmp_le_u64_e64 s[0:1], s[0:1], v[4:5]
                                        ; implicit-def: $vgpr6
                                        ; implicit-def: $vgpr8
                                        ; implicit-def: $vgpr12
                                        ; implicit-def: $vgpr10
	s_and_saveexec_b64 s[14:15], s[0:1]
	s_xor_b64 s[0:1], exec, s[14:15]
; %bb.9:
	s_mov_b32 s14, 0x15555556
	v_mul_hi_u32 v6, v0, s14
	v_mul_u32_u24_e32 v6, 12, v6
	v_sub_u32_e32 v6, v0, v6
	v_add_u32_e32 v8, 12, v6
	v_add_u32_e32 v12, 24, v6
	;; [unrolled: 1-line block ×3, first 2 shown]
                                        ; implicit-def: $vgpr0
                                        ; implicit-def: $vgpr14_vgpr15
; %bb.10:
	s_or_saveexec_b64 s[0:1], s[0:1]
	v_mul_u32_u24_e32 v1, 0x55, v1
	v_lshlrev_b32_e32 v16, 2, v1
	s_xor_b64 exec, exec, s[0:1]
	s_cbranch_execz .LBB0_12
; %bb.11:
	s_add_u32 s10, s12, s10
	s_addc_u32 s11, s13, s11
	s_load_dwordx2 s[10:11], s[10:11], 0x0
	s_mov_b32 s12, 0x15555556
	s_waitcnt lgkmcnt(0)
	v_mul_lo_u32 v1, s11, v4
	v_mul_lo_u32 v6, s10, v5
	v_mad_u64_u32 v[8:9], s[10:11], s10, v4, 0
	v_add3_u32 v9, v9, v6, v1
	v_mul_hi_u32 v1, v0, s12
	v_mul_u32_u24_e32 v1, 12, v1
	v_sub_u32_e32 v6, v0, v1
	v_lshl_add_u64 v[0:1], v[8:9], 2, s[4:5]
	v_lshl_add_u64 v[0:1], v[14:15], 2, v[0:1]
	v_lshlrev_b32_e32 v14, 2, v6
	v_mov_b32_e32 v15, 0
	v_lshl_add_u64 v[0:1], v[0:1], 0, v[14:15]
	global_load_dword v7, v[0:1], off
	global_load_dword v9, v[0:1], off offset:48
	global_load_dword v11, v[0:1], off offset:96
	global_load_dword v13, v[0:1], off offset:144
	global_load_dword v15, v[0:1], off offset:192
	global_load_dword v17, v[0:1], off offset:240
	global_load_dword v18, v[0:1], off offset:288
	v_add_u32_e32 v8, 12, v6
	v_add_u32_e32 v12, 24, v6
	v_add_u32_e32 v10, 36, v6
	v_add3_u32 v0, 0, v16, v14
	s_waitcnt vmcnt(5)
	ds_write2_b32 v0, v7, v9 offset1:12
	s_waitcnt vmcnt(3)
	ds_write2_b32 v0, v11, v13 offset0:24 offset1:36
	s_waitcnt vmcnt(1)
	ds_write2_b32 v0, v15, v17 offset0:48 offset1:60
	s_waitcnt vmcnt(0)
	ds_write_b32 v0, v18 offset:288
.LBB0_12:
	s_or_b64 exec, exec, s[0:1]
	v_lshlrev_b32_e32 v7, 2, v6
	v_add3_u32 v9, 0, v7, v16
	s_load_dwordx2 s[4:5], s[2:3], 0x0
	s_waitcnt lgkmcnt(0)
	s_barrier
	ds_read2_b32 v[0:1], v9 offset0:12 offset1:24
	ds_read2_b32 v[14:15], v9 offset0:60 offset1:72
	v_add_u32_e32 v20, 0, v16
	ds_read2_b32 v[18:19], v9 offset0:36 offset1:48
	v_add_u32_e32 v11, v20, v7
	ds_read_b32 v13, v11
	s_waitcnt lgkmcnt(2)
	v_pk_add_f16 v17, v0, v15
	v_pk_add_f16 v22, v1, v14
	s_waitcnt lgkmcnt(1)
	v_pk_add_f16 v23, v18, v19
	v_pk_add_f16 v24, v22, v17
	v_pk_add_f16 v0, v0, v15 neg_lo:[0,1] neg_hi:[0,1]
	v_pk_add_f16 v24, v23, v24
	v_pk_add_f16 v1, v1, v14 neg_lo:[0,1] neg_hi:[0,1]
	s_waitcnt lgkmcnt(0)
	v_pk_add_f16 v25, v13, v24
	v_pk_add_f16 v13, v19, v18 neg_lo:[0,1] neg_hi:[0,1]
	s_mov_b32 s10, 0xbcab
	v_pk_add_f16 v14, v22, v17 neg_lo:[0,1] neg_hi:[0,1]
	v_pk_add_f16 v18, v0, v13 neg_lo:[0,1] neg_hi:[0,1]
	v_pk_add_f16 v19, v1, v0 neg_lo:[0,1] neg_hi:[0,1]
	s_movk_i32 s2, 0x3574
	s_movk_i32 s3, 0x3b00
	v_pk_fma_f16 v24, v24, s10, v25 op_sel_hi:[1,0,1]
	v_pk_add_f16 v22, v23, v22 neg_lo:[0,1] neg_hi:[0,1]
	s_movk_i32 s10, 0x2b26
	v_pk_add_f16 v15, v17, v23 neg_lo:[0,1] neg_hi:[0,1]
	v_pk_add_f16 v17, v13, v1
	s_movk_i32 s0, 0x3a52
	s_movk_i32 s1, 0x39e0
	v_pk_mul_f16 v27, v18, s2 op_sel_hi:[1,0]
	v_pk_mul_f16 v28, v19, s3 op_sel_hi:[1,0]
	;; [unrolled: 1-line block ×3, first 2 shown]
	v_pk_add_f16 v1, v13, v1 neg_lo:[0,1] neg_hi:[0,1]
	s_mov_b32 s10, 0xb846
	v_pk_add_f16 v0, v17, v0
	v_pk_mul_f16 v17, v15, s0 op_sel_hi:[1,0]
	v_pk_mul_f16 v26, v14, s1 op_sel_hi:[1,0]
	v_pk_fma_f16 v18, v18, s2, v28 op_sel_hi:[1,0,1] neg_lo:[1,0,1] neg_hi:[1,0,1]
	s_movk_i32 s2, 0x370e
	v_pk_mul_f16 v13, v1, s10 op_sel_hi:[1,0]
	v_alignbit_b32 v23, s0, v22, 16
	v_pk_fma_f16 v1, v1, s10, v27 op_sel_hi:[1,0,1]
	v_pk_add_f16 v26, v17, v26 op_sel:[1,1] op_sel_hi:[0,0] neg_lo:[1,1] neg_hi:[1,1]
	v_pk_fma_f16 v15, v15, s0, v22 op_sel_hi:[1,0,1]
	v_pk_add_f16 v17, v23, v17 op_sel:[0,1] op_sel_hi:[1,0]
	v_pk_fma_f16 v13, v19, s3, v13 op_sel_hi:[1,0,1] neg_lo:[0,0,1] neg_hi:[0,0,1]
	v_pk_fma_f16 v1, v0, s2, v1 op_sel_hi:[1,0,1]
	v_pk_fma_f16 v18, v0, s2, v18 op_sel_hi:[1,0,1]
	v_pk_fma_f16 v14, v14, s1, v22 op_sel_hi:[1,0,1] neg_lo:[0,0,1] neg_hi:[0,0,1]
	v_pk_add_f16 v15, v15, v24
	v_pk_add_f16 v17, v17, v24 op_sel:[0,1] op_sel_hi:[1,0]
	v_pk_fma_f16 v0, v0, s2, v13 op_sel_hi:[1,0,1]
	v_alignbit_b32 v13, s0, v1, 16
	v_pk_add_f16 v26, v26, v24 op_sel:[0,1] op_sel_hi:[1,0]
	v_pk_add_f16 v14, v14, v24
	v_pk_add_f16 v19, v15, v13
	v_pk_add_f16 v22, v17, v1 neg_lo:[0,1] neg_hi:[0,1]
	v_mad_u32_u24 v21, v6, 24, v9
	v_pk_add_f16 v28, v26, v18
	v_pk_add_f16 v18, v26, v18 neg_lo:[0,1] neg_hi:[0,1]
	v_pk_add_f16 v23, v14, v0 op_sel:[0,1] op_sel_hi:[1,0] neg_lo:[0,1] neg_hi:[0,1]
	v_pk_add_f16 v0, v14, v0 op_sel:[0,1] op_sel_hi:[1,0]
	s_mov_b32 s10, 0xffff
	v_pk_add_f16 v17, v1, v17
	v_pack_b32_f16 v1, v19, v22
	s_barrier
	v_alignbit_b32 v26, v18, v28, 16
	v_bfi_b32 v14, s10, v23, v0
	v_pk_add_f16 v13, v15, v13 neg_lo:[0,1] neg_hi:[0,1]
	ds_write2_b32 v21, v25, v1 offset1:1
	ds_write2_b32 v21, v26, v14 offset0:2 offset1:3
	v_bfi_b32 v0, s10, v0, v23
	v_alignbit_b32 v1, v28, v18, 16
	ds_write2_b32 v21, v0, v1 offset0:4 offset1:5
	v_pack_b32_f16 v0, v13, v17
	ds_write_b32 v21, v0 offset:24
	v_lshl_add_u32 v21, v12, 2, v20
	s_waitcnt lgkmcnt(0)
	s_barrier
	ds_read_b32 v15, v11
	ds_read2_b32 v[0:1], v9 offset0:42 offset1:54
	v_lshl_add_u32 v22, v8, 2, v20
	ds_read_b32 v19, v21
	ds_read_b32 v18, v22
	ds_read_b32 v14, v9 offset:264
	v_cmp_gt_u32_e64 s[0:1], 6, v6
                                        ; implicit-def: $vgpr23
	s_and_saveexec_b64 s[2:3], s[0:1]
	s_cbranch_execz .LBB0_14
; %bb.13:
	v_lshlrev_b32_e32 v13, 2, v10
	v_add3_u32 v13, 0, v13, v16
	ds_read_b32 v13, v13
	ds_read_b32 v23, v9 offset:312
	s_waitcnt lgkmcnt(1)
	v_lshrrev_b32_e32 v17, 16, v13
	s_waitcnt lgkmcnt(0)
	v_alignbit_b32 v23, v23, v23, 16
.LBB0_14:
	s_or_b64 exec, exec, s[2:3]
	v_add_u32_e32 v24, -7, v6
	v_cmp_gt_u32_e64 s[2:3], 7, v6
	v_mov_b32_e32 v25, 0
	s_nop 0
	v_cndmask_b32_e64 v24, v24, v6, s[2:3]
	v_lshl_add_u64 v[26:27], v[24:25], 2, s[8:9]
	v_mov_b32_e32 v25, 37
	v_mul_lo_u16_sdwa v28, v8, v25 dst_sel:DWORD dst_unused:UNUSED_PAD src0_sel:BYTE_0 src1_sel:DWORD
	v_mul_lo_u16_sdwa v30, v12, v25 dst_sel:DWORD dst_unused:UNUSED_PAD src0_sel:BYTE_0 src1_sel:DWORD
	;; [unrolled: 1-line block ×3, first 2 shown]
	v_sub_u16_sdwa v31, v12, v30 dst_sel:DWORD dst_unused:UNUSED_PAD src0_sel:DWORD src1_sel:BYTE_1
	v_sub_u16_sdwa v32, v10, v25 dst_sel:DWORD dst_unused:UNUSED_PAD src0_sel:DWORD src1_sel:BYTE_1
	;; [unrolled: 1-line block ×3, first 2 shown]
	v_lshrrev_b16_e32 v31, 1, v31
	v_lshrrev_b16_e32 v32, 1, v32
	;; [unrolled: 1-line block ×3, first 2 shown]
	v_and_b32_e32 v31, 0x7f, v31
	v_and_b32_e32 v32, 0x7f, v32
	;; [unrolled: 1-line block ×3, first 2 shown]
	v_add_u16_sdwa v30, v31, v30 dst_sel:DWORD dst_unused:UNUSED_PAD src0_sel:DWORD src1_sel:BYTE_1
	v_add_u16_sdwa v25, v32, v25 dst_sel:DWORD dst_unused:UNUSED_PAD src0_sel:DWORD src1_sel:BYTE_1
	;; [unrolled: 1-line block ×3, first 2 shown]
	v_lshrrev_b16_e32 v30, 2, v30
	v_lshrrev_b16_e32 v25, 2, v25
	;; [unrolled: 1-line block ×3, first 2 shown]
	v_mul_lo_u16_e32 v31, 7, v30
	v_mul_lo_u16_e32 v25, 7, v25
	;; [unrolled: 1-line block ×3, first 2 shown]
	v_sub_u16_e32 v31, v12, v31
	v_sub_u16_e32 v25, v10, v25
	v_mov_b32_e32 v32, 2
	v_sub_u16_e32 v29, v8, v29
	v_lshlrev_b32_sdwa v25, v32, v25 dst_sel:DWORD dst_unused:UNUSED_PAD src0_sel:DWORD src1_sel:BYTE_0
	v_lshlrev_b32_sdwa v31, v32, v31 dst_sel:DWORD dst_unused:UNUSED_PAD src0_sel:DWORD src1_sel:BYTE_0
	global_load_dword v33, v25, s[8:9]
	v_lshlrev_b32_sdwa v29, v32, v29 dst_sel:DWORD dst_unused:UNUSED_PAD src0_sel:DWORD src1_sel:BYTE_0
	global_load_dword v32, v31, s[8:9]
	global_load_dword v34, v29, s[8:9]
	global_load_dword v35, v[26:27], off
	v_cmp_lt_u32_e64 s[2:3], 6, v6
	v_lshlrev_b32_e32 v24, 2, v24
	v_lshrrev_b32_e32 v26, 16, v23
	v_cndmask_b32_e64 v27, 0, 56, s[2:3]
	v_add_u32_e32 v27, 0, v27
	v_add3_u32 v27, v27, v24, v16
	v_mad_u32_u24 v24, v28, 56, 0
	v_mad_u32_u24 v28, v30, 56, 0
	v_add3_u32 v29, v24, v29, v16
	v_add3_u32 v28, v28, v31, v16
	s_waitcnt lgkmcnt(0)
	s_barrier
	s_waitcnt vmcnt(2)
	v_pk_mul_f16 v31, v32, v14 op_sel:[0,1]
	v_mul_f16_sdwa v24, v23, v33 dst_sel:DWORD dst_unused:UNUSED_PAD src0_sel:DWORD src1_sel:WORD_1
	v_mul_f16_sdwa v30, v26, v33 dst_sel:DWORD dst_unused:UNUSED_PAD src0_sel:DWORD src1_sel:WORD_1
	s_waitcnt vmcnt(0)
	v_pk_mul_f16 v37, v35, v0 op_sel:[0,1]
	v_pk_mul_f16 v36, v34, v1 op_sel:[0,1]
	v_fma_f16 v24, v26, v33, -v24
	v_fma_f16 v23, v23, v33, v30
	v_pk_fma_f16 v26, v32, v14, v31 op_sel:[0,0,1] op_sel_hi:[1,1,0] neg_lo:[0,0,1] neg_hi:[0,0,1]
	v_pk_fma_f16 v30, v32, v14, v31 op_sel:[0,0,1] op_sel_hi:[1,0,0]
	v_pk_fma_f16 v32, v35, v0, v37 op_sel:[0,0,1] op_sel_hi:[1,1,0] neg_lo:[0,0,1] neg_hi:[0,0,1]
	v_pk_fma_f16 v0, v35, v0, v37 op_sel:[0,0,1] op_sel_hi:[1,0,0]
	;; [unrolled: 2-line block ×3, first 2 shown]
	v_bfi_b32 v0, s10, v32, v0
	v_sub_f16_e32 v14, v13, v24
	v_sub_f16_e32 v24, v17, v23
	v_bfi_b32 v26, s10, v26, v30
	v_bfi_b32 v1, s10, v31, v1
	v_pk_add_f16 v0, v15, v0 neg_lo:[0,1] neg_hi:[0,1]
	v_fma_f16 v13, v13, 2.0, -v14
	v_fma_f16 v23, v17, 2.0, -v24
	v_pk_add_f16 v17, v19, v26 neg_lo:[0,1] neg_hi:[0,1]
	v_pk_add_f16 v1, v18, v1 neg_lo:[0,1] neg_hi:[0,1]
	v_pk_fma_f16 v15, v15, 2.0, v0 op_sel_hi:[1,0,1] neg_lo:[0,0,1] neg_hi:[0,0,1]
	v_pk_fma_f16 v19, v19, 2.0, v17 op_sel_hi:[1,0,1] neg_lo:[0,0,1] neg_hi:[0,0,1]
	;; [unrolled: 1-line block ×3, first 2 shown]
	ds_write2_b32 v27, v15, v0 offset1:7
	ds_write2_b32 v29, v18, v1 offset1:7
	;; [unrolled: 1-line block ×3, first 2 shown]
	s_and_saveexec_b64 s[2:3], s[0:1]
	s_cbranch_execz .LBB0_16
; %bb.15:
	s_mov_b32 s10, 0x5040100
	v_add3_u32 v0, 0, v25, v16
	v_perm_b32 v1, v23, v13, s10
	v_perm_b32 v15, v24, v14, s10
	ds_write2_b32 v0, v1, v15 offset0:70 offset1:77
.LBB0_16:
	s_or_b64 exec, exec, s[2:3]
	s_waitcnt lgkmcnt(0)
	s_barrier
	ds_read2_b32 v[18:19], v9 offset0:14 offset1:28
	ds_read2_b32 v[16:17], v9 offset0:42 offset1:56
	ds_read_b32 v29, v11
	ds_read_b32 v30, v9 offset:280
	v_cmp_gt_u32_e64 s[2:3], 2, v6
                                        ; implicit-def: $vgpr26
                                        ; implicit-def: $vgpr25
                                        ; implicit-def: $vgpr28
                                        ; implicit-def: $vgpr1
                                        ; implicit-def: $vgpr27
                                        ; implicit-def: $vgpr15
	s_and_saveexec_b64 s[10:11], s[2:3]
	s_cbranch_execz .LBB0_18
; %bb.17:
	ds_read_b32 v13, v22
	ds_read2_b32 v[0:1], v9 offset0:54 offset1:68
	ds_read_b32 v25, v9 offset:328
	ds_read2_b32 v[14:15], v9 offset0:26 offset1:40
	s_mov_b32 s12, 0xffff
	s_waitcnt lgkmcnt(3)
	v_lshrrev_b32_e32 v23, 16, v13
	s_waitcnt lgkmcnt(2)
	v_lshrrev_b32_e32 v27, 16, v0
	v_lshrrev_b32_e32 v28, 16, v1
	s_waitcnt lgkmcnt(1)
	v_lshrrev_b32_e32 v26, 16, v25
	s_waitcnt lgkmcnt(0)
	v_lshrrev_b32_e32 v24, 16, v14
	v_bfi_b32 v14, s12, v14, v15
.LBB0_18:
	s_or_b64 exec, exec, s[10:11]
	v_mul_u32_u24_e32 v31, 5, v6
	v_lshlrev_b32_e32 v31, 2, v31
	global_load_dwordx4 v[32:35], v31, s[8:9] offset:28
	global_load_dword v36, v31, s[8:9] offset:44
	s_waitcnt lgkmcnt(0)
	v_lshrrev_b32_e32 v37, 16, v30
	v_lshrrev_b32_e32 v38, 16, v17
	;; [unrolled: 1-line block ×6, first 2 shown]
	s_movk_i32 s12, 0x3aee
	s_mov_b32 s13, 0xbaee
	s_barrier
	s_waitcnt vmcnt(1)
	v_mul_f16_sdwa v42, v32, v41 dst_sel:DWORD dst_unused:UNUSED_PAD src0_sel:WORD_1 src1_sel:DWORD
	v_mul_f16_sdwa v43, v32, v18 dst_sel:DWORD dst_unused:UNUSED_PAD src0_sel:WORD_1 src1_sel:DWORD
	;; [unrolled: 1-line block ×8, first 2 shown]
	s_waitcnt vmcnt(0)
	v_mul_f16_sdwa v50, v36, v37 dst_sel:DWORD dst_unused:UNUSED_PAD src0_sel:WORD_1 src1_sel:DWORD
	v_mul_f16_sdwa v51, v36, v30 dst_sel:DWORD dst_unused:UNUSED_PAD src0_sel:WORD_1 src1_sel:DWORD
	v_fma_f16 v18, v32, v18, -v42
	v_fma_f16 v32, v32, v41, v43
	v_fma_f16 v19, v33, v19, -v44
	v_fma_f16 v33, v33, v40, v45
	;; [unrolled: 2-line block ×5, first 2 shown]
	v_sub_f16_e32 v39, v33, v35
	v_add_f16_e32 v40, v31, v33
	v_add_f16_e32 v33, v33, v35
	;; [unrolled: 1-line block ×3, first 2 shown]
	v_sub_f16_e32 v43, v34, v36
	v_add_f16_e32 v44, v32, v34
	v_add_f16_e32 v34, v34, v36
	;; [unrolled: 1-line block ×4, first 2 shown]
	v_sub_f16_e32 v19, v19, v17
	v_add_f16_e32 v41, v18, v16
	v_sub_f16_e32 v16, v16, v30
	v_fma_f16 v31, v33, -0.5, v31
	v_fma_f16 v18, v42, -0.5, v18
	;; [unrolled: 1-line block ×3, first 2 shown]
	v_add_f16_e32 v17, v37, v17
	v_fma_f16 v29, v38, -0.5, v29
	v_add_f16_e32 v35, v40, v35
	v_add_f16_e32 v30, v41, v30
	;; [unrolled: 1-line block ×3, first 2 shown]
	v_fma_f16 v36, v19, s13, v31
	v_fma_f16 v19, v19, s12, v31
	;; [unrolled: 1-line block ×8, first 2 shown]
	v_add_f16_e32 v32, v17, v30
	v_add_f16_e32 v38, v35, v33
	v_sub_f16_e32 v17, v17, v30
	v_sub_f16_e32 v30, v35, v33
	v_mul_f16_e32 v33, 0x3aee, v37
	v_mul_f16_e32 v39, 0xbaee, v31
	v_mul_f16_e32 v35, -0.5, v18
	v_mul_f16_e32 v40, -0.5, v16
	v_pack_b32_f16 v17, v17, v30
	v_fma_f16 v30, v31, 0.5, v33
	v_fma_f16 v31, v37, 0.5, v39
	v_fma_f16 v16, v16, s12, v35
	v_fma_f16 v18, v18, s13, v40
	v_add_f16_e32 v33, v34, v30
	v_add_f16_e32 v37, v36, v31
	v_pack_b32_f16 v32, v32, v38
	v_add_f16_e32 v35, v29, v16
	v_add_f16_e32 v38, v19, v18
	v_sub_f16_e32 v30, v34, v30
	v_sub_f16_e32 v16, v29, v16
	;; [unrolled: 1-line block ×4, first 2 shown]
	v_pack_b32_f16 v19, v33, v37
	v_pack_b32_f16 v31, v35, v38
	;; [unrolled: 1-line block ×4, first 2 shown]
	ds_write2_b32 v9, v32, v19 offset1:14
	ds_write2_b32 v9, v31, v17 offset0:28 offset1:42
	ds_write2_b32 v9, v29, v16 offset0:56 offset1:70
	s_and_saveexec_b64 s[10:11], s[2:3]
	s_cbranch_execz .LBB0_20
; %bb.19:
	v_add_u32_e32 v16, -2, v6
	v_cndmask_b32_e64 v16, v16, v8, s[2:3]
	v_mul_i32_i24_e32 v16, 5, v16
	v_mov_b32_e32 v17, 0
	v_lshl_add_u64 v[30:31], v[16:17], 2, s[8:9]
	global_load_dwordx4 v[16:19], v[30:31], off offset:28
	global_load_dword v29, v[30:31], off offset:44
	v_lshrrev_b32_e32 v30, 16, v14
	s_waitcnt vmcnt(1)
	v_mul_f16_sdwa v36, v27, v18 dst_sel:DWORD dst_unused:UNUSED_PAD src0_sel:DWORD src1_sel:WORD_1
	s_waitcnt vmcnt(0)
	v_mul_f16_sdwa v37, v26, v29 dst_sel:DWORD dst_unused:UNUSED_PAD src0_sel:DWORD src1_sel:WORD_1
	v_mul_f16_sdwa v38, v0, v18 dst_sel:DWORD dst_unused:UNUSED_PAD src0_sel:DWORD src1_sel:WORD_1
	;; [unrolled: 1-line block ×9, first 2 shown]
	v_fma_f16 v0, v0, v18, -v36
	v_fma_f16 v25, v25, v29, -v37
	v_fma_f16 v18, v27, v18, v38
	v_fma_f16 v26, v26, v29, v39
	v_fma_f16 v15, v15, v17, -v31
	v_fma_f16 v1, v1, v19, -v32
	v_fma_f16 v17, v30, v17, v33
	v_fma_f16 v19, v28, v19, v34
	v_fma_f16 v14, v14, v16, -v35
	v_fma_f16 v16, v24, v16, v40
	v_add_f16_e32 v28, v0, v25
	v_add_f16_e32 v31, v18, v26
	v_sub_f16_e32 v24, v15, v1
	v_add_f16_e32 v27, v17, v19
	v_sub_f16_e32 v29, v18, v26
	v_sub_f16_e32 v30, v0, v25
	v_add_f16_e32 v32, v23, v17
	v_add_f16_e32 v18, v16, v18
	;; [unrolled: 1-line block ×5, first 2 shown]
	v_fma_f16 v14, v28, -0.5, v14
	v_fma_f16 v16, v31, -0.5, v16
	v_sub_f16_e32 v17, v17, v19
	v_fma_f16 v23, v27, -0.5, v23
	v_add_f16_e32 v19, v32, v19
	v_add_f16_e32 v18, v18, v26
	v_fma_f16 v13, v33, -0.5, v13
	v_add_f16_e32 v1, v15, v1
	v_add_f16_e32 v0, v0, v25
	v_fma_f16 v25, v29, s13, v14
	v_fma_f16 v26, v30, s12, v16
	;; [unrolled: 1-line block ×6, first 2 shown]
	v_sub_f16_e32 v24, v19, v18
	v_fma_f16 v27, v17, s13, v13
	v_fma_f16 v13, v17, s12, v13
	v_sub_f16_e32 v17, v1, v0
	v_add_f16_e32 v18, v19, v18
	v_add_f16_e32 v0, v1, v0
	v_mul_f16_e32 v1, -0.5, v26
	v_mul_f16_e32 v19, 0xbaee, v14
	v_mul_f16_e32 v29, 0x3aee, v16
	v_mul_f16_e32 v28, -0.5, v25
	v_fma_f16 v1, v25, s13, v1
	v_fma_f16 v16, v16, 0.5, v19
	v_fma_f16 v14, v14, 0.5, v29
	v_pack_b32_f16 v0, v0, v18
	v_fma_f16 v18, v26, s12, v28
	v_sub_f16_e32 v19, v15, v1
	v_sub_f16_e32 v26, v13, v14
	v_add_f16_e32 v1, v15, v1
	v_add_f16_e32 v15, v23, v16
	;; [unrolled: 1-line block ×3, first 2 shown]
	v_pack_b32_f16 v17, v17, v24
	v_sub_f16_e32 v24, v23, v16
	v_sub_f16_e32 v25, v27, v18
	v_add_f16_e32 v16, v27, v18
	v_pack_b32_f16 v13, v13, v15
	v_pack_b32_f16 v1, v16, v1
	;; [unrolled: 1-line block ×4, first 2 shown]
	ds_write2_b32 v9, v0, v13 offset0:12 offset1:26
	ds_write2_b32 v9, v1, v17 offset0:40 offset1:54
	;; [unrolled: 1-line block ×3, first 2 shown]
.LBB0_20:
	s_or_b64 exec, exec, s[10:11]
	s_waitcnt lgkmcnt(0)
	s_barrier
	ds_read_b32 v9, v11
	v_sub_u32_e32 v0, v20, v7
	v_cmp_ne_u32_e64 s[2:3], 0, v6
                                        ; implicit-def: $vgpr14
                                        ; implicit-def: $vgpr1
                                        ; implicit-def: $vgpr7
	s_and_saveexec_b64 s[10:11], s[2:3]
	s_xor_b64 s[2:3], exec, s[10:11]
	s_cbranch_execz .LBB0_22
; %bb.21:
	v_mov_b32_e32 v7, 0
	v_lshl_add_u64 v[14:15], v[6:7], 2, s[8:9]
	global_load_dword v13, v[14:15], off offset:308
	ds_read_b32 v1, v0 offset:336
	s_waitcnt lgkmcnt(0)
	v_add_f16_sdwa v7, v1, v9 dst_sel:DWORD dst_unused:UNUSED_PAD src0_sel:WORD_1 src1_sel:WORD_1
	v_sub_f16_e32 v15, v9, v1
	v_add_f16_e32 v14, v1, v9
	v_sub_f16_sdwa v1, v9, v1 dst_sel:DWORD dst_unused:UNUSED_PAD src0_sel:WORD_1 src1_sel:WORD_1
	v_mul_f16_e32 v9, 0.5, v7
	v_mul_f16_e32 v15, 0.5, v15
	;; [unrolled: 1-line block ×3, first 2 shown]
	s_waitcnt vmcnt(0)
	v_lshrrev_b32_e32 v7, 16, v13
	v_mul_f16_e32 v16, v7, v15
	v_fma_f16 v17, v9, v7, v1
	v_fma_f16 v18, v9, v7, -v1
	v_fma_f16 v1, v14, 0.5, v16
	v_fma_f16 v14, v14, 0.5, -v16
	v_fma_f16 v16, v13, v9, v1
	v_fma_f16 v7, -v13, v15, v17
	v_fma_f16 v1, -v13, v9, v14
	ds_write_b16 v11, v16
	v_fma_f16 v14, -v13, v15, v18
                                        ; implicit-def: $vgpr9
.LBB0_22:
	s_andn2_saveexec_b64 s[2:3], s[2:3]
	s_cbranch_execz .LBB0_24
; %bb.23:
	ds_read_u16 v13, v20 offset:170
	s_waitcnt lgkmcnt(1)
	v_add_f16_sdwa v14, v9, v9 dst_sel:DWORD dst_unused:UNUSED_PAD src0_sel:WORD_1 src1_sel:DWORD
	v_sub_f16_sdwa v1, v9, v9 dst_sel:DWORD dst_unused:UNUSED_PAD src0_sel:DWORD src1_sel:WORD_1
	v_mov_b32_e32 v7, 0
	ds_write_b16 v11, v14
	s_waitcnt lgkmcnt(1)
	v_xor_b32_e32 v9, 0x8000, v13
	v_mov_b32_e32 v14, 0
	ds_write_b16 v20, v9 offset:170
.LBB0_24:
	s_or_b64 exec, exec, s[2:3]
	s_waitcnt lgkmcnt(0)
	v_mov_b32_e32 v9, 0
	v_lshl_add_u64 v[16:17], v[8:9], 2, s[8:9]
	global_load_dword v8, v[16:17], off offset:308
	v_mov_b32_e32 v13, v9
	v_lshl_add_u64 v[12:13], v[12:13], 2, s[8:9]
	global_load_dword v12, v[12:13], off offset:308
	s_mov_b32 s2, 0x5040100
	v_perm_b32 v1, v14, v1, s2
	ds_write_b16 v11, v7 offset:2
	ds_write_b32 v0, v1 offset:336
	ds_read_b32 v1, v22
	ds_read_b32 v7, v0 offset:288
	s_mov_b32 s10, 0xffff
	s_waitcnt lgkmcnt(0)
	v_pk_add_f16 v11, v1, v7 neg_lo:[0,1] neg_hi:[0,1]
	v_pk_add_f16 v1, v1, v7
	s_nop 0
	v_bfi_b32 v7, s10, v11, v1
	v_bfi_b32 v1, s10, v1, v11
	v_pk_mul_f16 v7, v7, 0.5 op_sel_hi:[1,0]
	v_pk_mul_f16 v1, v1, 0.5 op_sel_hi:[1,0]
	s_waitcnt vmcnt(1)
	v_pk_mul_f16 v13, v8, v7 op_sel_hi:[0,1]
	v_pk_fma_f16 v11, v8, v7, v1 op_sel:[1,0,0]
	v_pk_fma_f16 v14, v8, v7, v1 op_sel:[1,0,0] neg_lo:[1,0,0] neg_hi:[1,0,0]
	v_pk_fma_f16 v1, v8, v7, v1 op_sel:[1,0,0] neg_lo:[0,0,1] neg_hi:[0,0,1]
	v_pk_add_f16 v7, v11, v13 op_sel:[0,1] op_sel_hi:[1,0]
	v_pk_add_f16 v8, v11, v13 op_sel:[0,1] op_sel_hi:[1,0] neg_lo:[0,1] neg_hi:[0,1]
	v_pk_add_f16 v11, v14, v13 op_sel:[0,1] op_sel_hi:[1,0] neg_lo:[0,1] neg_hi:[0,1]
	v_pk_add_f16 v1, v1, v13 op_sel:[0,1] op_sel_hi:[1,0] neg_lo:[0,1] neg_hi:[0,1]
	v_bfi_b32 v7, s10, v7, v8
	v_bfi_b32 v1, s10, v11, v1
	ds_write_b32 v22, v7
	ds_write_b32 v0, v1 offset:288
	ds_read_b32 v1, v21
	ds_read_b32 v7, v0 offset:240
	s_waitcnt lgkmcnt(0)
	v_pk_add_f16 v8, v1, v7 neg_lo:[0,1] neg_hi:[0,1]
	v_pk_add_f16 v1, v1, v7
	s_nop 0
	v_bfi_b32 v7, s10, v8, v1
	v_bfi_b32 v1, s10, v1, v8
	v_pk_mul_f16 v7, v7, 0.5 op_sel_hi:[1,0]
	v_pk_mul_f16 v1, v1, 0.5 op_sel_hi:[1,0]
	s_waitcnt vmcnt(0)
	v_pk_mul_f16 v11, v12, v7 op_sel_hi:[0,1]
	v_pk_fma_f16 v8, v12, v7, v1 op_sel:[1,0,0]
	v_pk_fma_f16 v13, v12, v7, v1 op_sel:[1,0,0] neg_lo:[1,0,0] neg_hi:[1,0,0]
	v_pk_fma_f16 v1, v12, v7, v1 op_sel:[1,0,0] neg_lo:[0,0,1] neg_hi:[0,0,1]
	v_pk_add_f16 v7, v8, v11 op_sel:[0,1] op_sel_hi:[1,0]
	v_pk_add_f16 v8, v8, v11 op_sel:[0,1] op_sel_hi:[1,0] neg_lo:[0,1] neg_hi:[0,1]
	v_pk_add_f16 v12, v13, v11 op_sel:[0,1] op_sel_hi:[1,0] neg_lo:[0,1] neg_hi:[0,1]
	;; [unrolled: 1-line block ×3, first 2 shown]
	v_bfi_b32 v7, s10, v7, v8
	v_bfi_b32 v1, s10, v12, v1
	ds_write_b32 v21, v7
	ds_write_b32 v0, v1 offset:240
	s_and_saveexec_b64 s[2:3], s[0:1]
	s_cbranch_execz .LBB0_26
; %bb.25:
	v_mov_b32_e32 v11, v9
	v_lshl_add_u64 v[8:9], v[10:11], 2, s[8:9]
	global_load_dword v1, v[8:9], off offset:308
	v_lshl_add_u32 v7, v10, 2, v20
	ds_read_b32 v8, v7
	ds_read_b32 v9, v0 offset:192
	s_waitcnt lgkmcnt(0)
	v_pk_add_f16 v10, v8, v9 neg_lo:[0,1] neg_hi:[0,1]
	v_pk_add_f16 v8, v8, v9
	s_nop 0
	v_bfi_b32 v9, s10, v10, v8
	v_bfi_b32 v8, s10, v8, v10
	v_pk_mul_f16 v9, v9, 0.5 op_sel_hi:[1,0]
	v_pk_mul_f16 v8, v8, 0.5 op_sel_hi:[1,0]
	s_waitcnt vmcnt(0)
	v_pk_mul_f16 v11, v1, v9 op_sel_hi:[0,1]
	v_pk_fma_f16 v10, v1, v9, v8 op_sel:[1,0,0]
	v_pk_fma_f16 v12, v1, v9, v8 op_sel:[1,0,0] neg_lo:[1,0,0] neg_hi:[1,0,0]
	v_pk_fma_f16 v1, v1, v9, v8 op_sel:[1,0,0] neg_lo:[0,0,1] neg_hi:[0,0,1]
	v_pk_add_f16 v8, v10, v11 op_sel:[0,1] op_sel_hi:[1,0]
	v_pk_add_f16 v9, v10, v11 op_sel:[0,1] op_sel_hi:[1,0] neg_lo:[0,1] neg_hi:[0,1]
	v_pk_add_f16 v10, v12, v11 op_sel:[0,1] op_sel_hi:[1,0] neg_lo:[0,1] neg_hi:[0,1]
	;; [unrolled: 1-line block ×3, first 2 shown]
	v_bfi_b32 v8, s10, v8, v9
	v_bfi_b32 v1, s10, v10, v1
	ds_write_b32 v7, v8
	ds_write_b32 v0, v1 offset:192
.LBB0_26:
	s_or_b64 exec, exec, s[2:3]
	s_waitcnt lgkmcnt(0)
	s_barrier
	s_and_saveexec_b64 s[0:1], vcc
	s_cbranch_execz .LBB0_29
; %bb.27:
	v_mul_lo_u32 v7, s5, v4
	v_mad_u64_u32 v[0:1], s[0:1], s4, v4, 0
	v_lshl_add_u32 v4, v6, 2, v20
	v_mul_lo_u32 v5, s4, v5
	ds_read2_b32 v[8:9], v4 offset1:12
	v_add3_u32 v1, v1, v5, v7
	v_lshl_add_u64 v[0:1], v[0:1], 2, s[6:7]
	v_mov_b32_e32 v7, 0
	v_lshl_add_u64 v[0:1], v[2:3], 2, v[0:1]
	v_lshl_add_u64 v[2:3], v[6:7], 2, v[0:1]
	ds_read2_b32 v[10:11], v4 offset0:24 offset1:36
	s_waitcnt lgkmcnt(1)
	global_store_dword v[2:3], v8, off
	v_add_u32_e32 v2, 12, v6
	v_mov_b32_e32 v3, v7
	v_lshl_add_u64 v[2:3], v[2:3], 2, v[0:1]
	global_store_dword v[2:3], v9, off
	v_add_u32_e32 v2, 24, v6
	v_mov_b32_e32 v3, v7
	v_lshl_add_u64 v[2:3], v[2:3], 2, v[0:1]
	ds_read2_b32 v[8:9], v4 offset0:48 offset1:60
	s_waitcnt lgkmcnt(1)
	global_store_dword v[2:3], v10, off
	v_add_u32_e32 v2, 36, v6
	v_mov_b32_e32 v3, v7
	v_lshl_add_u64 v[2:3], v[2:3], 2, v[0:1]
	global_store_dword v[2:3], v11, off
	v_add_u32_e32 v2, 48, v6
	v_mov_b32_e32 v3, v7
	v_lshl_add_u64 v[2:3], v[2:3], 2, v[0:1]
	ds_read_b32 v5, v4 offset:288
	s_waitcnt lgkmcnt(1)
	global_store_dword v[2:3], v8, off
	v_add_u32_e32 v2, 60, v6
	v_mov_b32_e32 v3, v7
	v_lshl_add_u64 v[2:3], v[2:3], 2, v[0:1]
	global_store_dword v[2:3], v9, off
	v_add_u32_e32 v2, 0x48, v6
	v_mov_b32_e32 v3, v7
	v_lshl_add_u64 v[2:3], v[2:3], 2, v[0:1]
	v_cmp_eq_u32_e32 vcc, 11, v6
	s_waitcnt lgkmcnt(0)
	global_store_dword v[2:3], v5, off
	s_and_b64 exec, exec, vcc
	s_cbranch_execz .LBB0_29
; %bb.28:
	ds_read_b32 v2, v4 offset:292
	s_waitcnt lgkmcnt(0)
	global_store_dword v[0:1], v2, off offset:336
.LBB0_29:
	s_endpgm
	.section	.rodata,"a",@progbits
	.p2align	6, 0x0
	.amdhsa_kernel fft_rtc_fwd_len84_factors_7_2_6_wgs_120_tpt_12_halfLds_half_op_CI_CI_unitstride_sbrr_R2C_dirReg
		.amdhsa_group_segment_fixed_size 0
		.amdhsa_private_segment_fixed_size 0
		.amdhsa_kernarg_size 104
		.amdhsa_user_sgpr_count 2
		.amdhsa_user_sgpr_dispatch_ptr 0
		.amdhsa_user_sgpr_queue_ptr 0
		.amdhsa_user_sgpr_kernarg_segment_ptr 1
		.amdhsa_user_sgpr_dispatch_id 0
		.amdhsa_user_sgpr_kernarg_preload_length 0
		.amdhsa_user_sgpr_kernarg_preload_offset 0
		.amdhsa_user_sgpr_private_segment_size 0
		.amdhsa_uses_dynamic_stack 0
		.amdhsa_enable_private_segment 0
		.amdhsa_system_sgpr_workgroup_id_x 1
		.amdhsa_system_sgpr_workgroup_id_y 0
		.amdhsa_system_sgpr_workgroup_id_z 0
		.amdhsa_system_sgpr_workgroup_info 0
		.amdhsa_system_vgpr_workitem_id 0
		.amdhsa_next_free_vgpr 52
		.amdhsa_next_free_sgpr 28
		.amdhsa_accum_offset 52
		.amdhsa_reserve_vcc 1
		.amdhsa_float_round_mode_32 0
		.amdhsa_float_round_mode_16_64 0
		.amdhsa_float_denorm_mode_32 3
		.amdhsa_float_denorm_mode_16_64 3
		.amdhsa_dx10_clamp 1
		.amdhsa_ieee_mode 1
		.amdhsa_fp16_overflow 0
		.amdhsa_tg_split 0
		.amdhsa_exception_fp_ieee_invalid_op 0
		.amdhsa_exception_fp_denorm_src 0
		.amdhsa_exception_fp_ieee_div_zero 0
		.amdhsa_exception_fp_ieee_overflow 0
		.amdhsa_exception_fp_ieee_underflow 0
		.amdhsa_exception_fp_ieee_inexact 0
		.amdhsa_exception_int_div_zero 0
	.end_amdhsa_kernel
	.text
.Lfunc_end0:
	.size	fft_rtc_fwd_len84_factors_7_2_6_wgs_120_tpt_12_halfLds_half_op_CI_CI_unitstride_sbrr_R2C_dirReg, .Lfunc_end0-fft_rtc_fwd_len84_factors_7_2_6_wgs_120_tpt_12_halfLds_half_op_CI_CI_unitstride_sbrr_R2C_dirReg
                                        ; -- End function
	.section	.AMDGPU.csdata,"",@progbits
; Kernel info:
; codeLenInByte = 5380
; NumSgprs: 34
; NumVgprs: 52
; NumAgprs: 0
; TotalNumVgprs: 52
; ScratchSize: 0
; MemoryBound: 0
; FloatMode: 240
; IeeeMode: 1
; LDSByteSize: 0 bytes/workgroup (compile time only)
; SGPRBlocks: 4
; VGPRBlocks: 6
; NumSGPRsForWavesPerEU: 34
; NumVGPRsForWavesPerEU: 52
; AccumOffset: 52
; Occupancy: 8
; WaveLimiterHint : 1
; COMPUTE_PGM_RSRC2:SCRATCH_EN: 0
; COMPUTE_PGM_RSRC2:USER_SGPR: 2
; COMPUTE_PGM_RSRC2:TRAP_HANDLER: 0
; COMPUTE_PGM_RSRC2:TGID_X_EN: 1
; COMPUTE_PGM_RSRC2:TGID_Y_EN: 0
; COMPUTE_PGM_RSRC2:TGID_Z_EN: 0
; COMPUTE_PGM_RSRC2:TIDIG_COMP_CNT: 0
; COMPUTE_PGM_RSRC3_GFX90A:ACCUM_OFFSET: 12
; COMPUTE_PGM_RSRC3_GFX90A:TG_SPLIT: 0
	.text
	.p2alignl 6, 3212836864
	.fill 256, 4, 3212836864
	.type	__hip_cuid_d3d2e9a7e2bb187a,@object ; @__hip_cuid_d3d2e9a7e2bb187a
	.section	.bss,"aw",@nobits
	.globl	__hip_cuid_d3d2e9a7e2bb187a
__hip_cuid_d3d2e9a7e2bb187a:
	.byte	0                               ; 0x0
	.size	__hip_cuid_d3d2e9a7e2bb187a, 1

	.ident	"AMD clang version 19.0.0git (https://github.com/RadeonOpenCompute/llvm-project roc-6.4.0 25133 c7fe45cf4b819c5991fe208aaa96edf142730f1d)"
	.section	".note.GNU-stack","",@progbits
	.addrsig
	.addrsig_sym __hip_cuid_d3d2e9a7e2bb187a
	.amdgpu_metadata
---
amdhsa.kernels:
  - .agpr_count:     0
    .args:
      - .actual_access:  read_only
        .address_space:  global
        .offset:         0
        .size:           8
        .value_kind:     global_buffer
      - .offset:         8
        .size:           8
        .value_kind:     by_value
      - .actual_access:  read_only
        .address_space:  global
        .offset:         16
        .size:           8
        .value_kind:     global_buffer
      - .actual_access:  read_only
        .address_space:  global
        .offset:         24
        .size:           8
        .value_kind:     global_buffer
      - .actual_access:  read_only
        .address_space:  global
        .offset:         32
        .size:           8
        .value_kind:     global_buffer
      - .offset:         40
        .size:           8
        .value_kind:     by_value
      - .actual_access:  read_only
        .address_space:  global
        .offset:         48
        .size:           8
        .value_kind:     global_buffer
      - .actual_access:  read_only
        .address_space:  global
        .offset:         56
        .size:           8
        .value_kind:     global_buffer
      - .offset:         64
        .size:           4
        .value_kind:     by_value
      - .actual_access:  read_only
        .address_space:  global
        .offset:         72
        .size:           8
        .value_kind:     global_buffer
      - .actual_access:  read_only
        .address_space:  global
        .offset:         80
        .size:           8
        .value_kind:     global_buffer
      - .actual_access:  read_only
        .address_space:  global
        .offset:         88
        .size:           8
        .value_kind:     global_buffer
      - .actual_access:  write_only
        .address_space:  global
        .offset:         96
        .size:           8
        .value_kind:     global_buffer
    .group_segment_fixed_size: 0
    .kernarg_segment_align: 8
    .kernarg_segment_size: 104
    .language:       OpenCL C
    .language_version:
      - 2
      - 0
    .max_flat_workgroup_size: 120
    .name:           fft_rtc_fwd_len84_factors_7_2_6_wgs_120_tpt_12_halfLds_half_op_CI_CI_unitstride_sbrr_R2C_dirReg
    .private_segment_fixed_size: 0
    .sgpr_count:     34
    .sgpr_spill_count: 0
    .symbol:         fft_rtc_fwd_len84_factors_7_2_6_wgs_120_tpt_12_halfLds_half_op_CI_CI_unitstride_sbrr_R2C_dirReg.kd
    .uniform_work_group_size: 1
    .uses_dynamic_stack: false
    .vgpr_count:     52
    .vgpr_spill_count: 0
    .wavefront_size: 64
amdhsa.target:   amdgcn-amd-amdhsa--gfx950
amdhsa.version:
  - 1
  - 2
...

	.end_amdgpu_metadata
